;; amdgpu-corpus repo=zjin-lcf/HeCBench kind=compiled arch=gfx906 opt=O3
	.amdgcn_target "amdgcn-amd-amdhsa--gfx906"
	.amdhsa_code_object_version 6
	.text
	.protected	_Z1kPii                 ; -- Begin function _Z1kPii
	.globl	_Z1kPii
	.p2align	8
	.type	_Z1kPii,@function
_Z1kPii:                                ; @_Z1kPii
; %bb.0:
	s_load_dword s2, s[4:5], 0x8
	s_waitcnt lgkmcnt(0)
	v_cvt_f32_u32_e32 v1, s2
	s_sub_i32 s0, 0, s2
	v_rcp_iflag_f32_e32 v1, v1
	v_mul_f32_e32 v1, 0x4f7ffffe, v1
	v_cvt_u32_f32_e32 v2, v1
	v_mul_lo_u32 v1, s0, v2
	s_load_dwordx2 s[0:1], s[4:5], 0x0
	v_mul_hi_u32 v3, v2, v1
	v_mov_b32_e32 v1, 0
	v_add_u32_e32 v2, v2, v3
	v_mul_hi_u32 v3, v0, v2
	v_mbcnt_lo_u32_b32 v2, -1, 0
	v_mbcnt_hi_u32_b32 v4, -1, v2
	v_and_b32_e32 v2, 31, v0
	v_mul_lo_u32 v5, v3, s2
	v_lshlrev_b32_e32 v3, 2, v4
	s_waitcnt lgkmcnt(0)
	v_mov_b32_e32 v4, s1
	v_and_b32_e32 v3, 0x100, v3
	v_sub_u32_e32 v0, v0, v5
	v_subrev_u32_e32 v5, s2, v0
	v_cmp_le_u32_e32 vcc, s2, v0
	v_cndmask_b32_e32 v0, v0, v5, vcc
	v_subrev_u32_e32 v5, s2, v0
	v_cmp_le_u32_e32 vcc, s2, v0
	v_cndmask_b32_e32 v0, v0, v5, vcc
	v_lshlrev_b64 v[0:1], 2, v[0:1]
	v_add_co_u32_e32 v0, vcc, s0, v0
	v_addc_co_u32_e32 v1, vcc, v4, v1, vcc
	ds_bpermute_b32 v4, v3, v0
	ds_bpermute_b32 v5, v3, v1
	ds_bpermute_b32 v6, v3, v0 offset:4
	ds_bpermute_b32 v7, v3, v1 offset:4
	;; [unrolled: 1-line block ×4, first 2 shown]
	s_waitcnt lgkmcnt(4)
	v_cmp_eq_u64_e32 vcc, v[4:5], v[0:1]
	ds_bpermute_b32 v10, v3, v0 offset:12
	s_waitcnt lgkmcnt(3)
	v_cmp_eq_u64_e64 s[0:1], v[6:7], v[0:1]
	ds_bpermute_b32 v11, v3, v1 offset:12
	s_waitcnt lgkmcnt(2)
	v_cmp_eq_u64_e64 s[2:3], v[8:9], v[0:1]
	v_mov_b32_e32 v4, vcc_lo
	v_mov_b32_e32 v5, s0
	v_cmp_eq_u32_e32 vcc, 1, v2
	ds_bpermute_b32 v12, v3, v0 offset:16
	ds_bpermute_b32 v13, v3, v1 offset:16
	v_mov_b32_e32 v6, s2
	v_cndmask_b32_e32 v4, v4, v5, vcc
	v_cmp_eq_u32_e32 vcc, 2, v2
	v_cndmask_b32_e32 v6, v4, v6, vcc
	ds_bpermute_b32 v4, v3, v0 offset:20
	ds_bpermute_b32 v5, v3, v1 offset:20
	s_waitcnt lgkmcnt(4)
	v_cmp_eq_u64_e64 s[4:5], v[10:11], v[0:1]
	s_waitcnt lgkmcnt(2)
	v_cmp_eq_u64_e32 vcc, v[12:13], v[0:1]
	v_mov_b32_e32 v7, s4
	v_cmp_eq_u32_e64 s[0:1], 3, v2
	v_cndmask_b32_e64 v6, v6, v7, s[0:1]
	s_waitcnt lgkmcnt(0)
	v_cmp_eq_u64_e64 s[0:1], v[4:5], v[0:1]
	ds_bpermute_b32 v4, v3, v0 offset:24
	ds_bpermute_b32 v5, v3, v1 offset:24
	v_mov_b32_e32 v7, vcc_lo
	v_cmp_eq_u32_e32 vcc, 4, v2
	v_cndmask_b32_e32 v8, v6, v7, vcc
	ds_bpermute_b32 v6, v3, v0 offset:28
	ds_bpermute_b32 v7, v3, v1 offset:28
	s_waitcnt lgkmcnt(2)
	v_cmp_eq_u64_e32 vcc, v[4:5], v[0:1]
	v_mov_b32_e32 v4, s0
	v_cmp_eq_u32_e64 s[0:1], 5, v2
	v_cndmask_b32_e64 v8, v8, v4, s[0:1]
	ds_bpermute_b32 v4, v3, v0 offset:32
	ds_bpermute_b32 v5, v3, v1 offset:32
	s_waitcnt lgkmcnt(2)
	v_cmp_eq_u64_e64 s[0:1], v[6:7], v[0:1]
	v_mov_b32_e32 v6, vcc_lo
	v_cmp_eq_u32_e32 vcc, 6, v2
	v_cndmask_b32_e32 v8, v8, v6, vcc
	ds_bpermute_b32 v6, v3, v0 offset:36
	ds_bpermute_b32 v7, v3, v1 offset:36
	s_waitcnt lgkmcnt(2)
	v_cmp_eq_u64_e32 vcc, v[4:5], v[0:1]
	v_mov_b32_e32 v4, s0
	v_cmp_eq_u32_e64 s[0:1], 7, v2
	v_cndmask_b32_e64 v8, v8, v4, s[0:1]
	ds_bpermute_b32 v4, v3, v0 offset:40
	ds_bpermute_b32 v5, v3, v1 offset:40
	s_waitcnt lgkmcnt(2)
	v_cmp_eq_u64_e64 s[0:1], v[6:7], v[0:1]
	;; [unrolled: 14-line block ×11, first 2 shown]
	v_mov_b32_e32 v6, vcc_lo
	v_cmp_eq_u32_e32 vcc, 26, v2
	v_cndmask_b32_e32 v8, v8, v6, vcc
	ds_bpermute_b32 v6, v3, v0 offset:116
	ds_bpermute_b32 v7, v3, v1 offset:116
	s_waitcnt lgkmcnt(2)
	v_cmp_eq_u64_e32 vcc, v[4:5], v[0:1]
	v_mov_b32_e32 v4, s0
	v_cmp_eq_u32_e64 s[0:1], 27, v2
	v_cndmask_b32_e64 v8, v8, v4, s[0:1]
	s_waitcnt lgkmcnt(0)
	v_cmp_eq_u64_e64 s[0:1], v[6:7], v[0:1]
	v_mov_b32_e32 v6, vcc_lo
	ds_bpermute_b32 v4, v3, v0 offset:120
	ds_bpermute_b32 v5, v3, v1 offset:120
	v_cmp_eq_u32_e32 vcc, 28, v2
	v_cndmask_b32_e32 v8, v8, v6, vcc
	ds_bpermute_b32 v6, v3, v0 offset:124
	ds_bpermute_b32 v7, v3, v1 offset:124
	s_waitcnt lgkmcnt(2)
	v_cmp_eq_u64_e32 vcc, v[4:5], v[0:1]
	v_mov_b32_e32 v3, s0
	v_cmp_eq_u32_e64 s[0:1], 29, v2
	v_cndmask_b32_e64 v3, v8, v3, s[0:1]
	s_waitcnt lgkmcnt(0)
	v_cmp_eq_u64_e64 s[0:1], v[6:7], v[0:1]
	v_mov_b32_e32 v4, vcc_lo
	v_cmp_eq_u32_e32 vcc, 30, v2
	v_cndmask_b32_e32 v3, v3, v4, vcc
	v_mov_b32_e32 v4, s0
	v_cmp_eq_u32_e32 vcc, 31, v2
	v_cndmask_b32_e32 v3, v3, v4, vcc
	v_ffbl_b32_e32 v4, v3
	v_cmp_ne_u32_e32 vcc, 0, v3
	v_cmp_eq_u32_e64 s[0:1], v4, v2
	s_and_b64 s[0:1], vcc, s[0:1]
	s_and_saveexec_b64 s[2:3], s[0:1]
	s_cbranch_execz .LBB0_2
; %bb.1:
	v_bcnt_u32_b32 v2, v3, 0
	global_atomic_add v[0:1], v2, off
.LBB0_2:
	s_endpgm
	.section	.rodata,"a",@progbits
	.p2align	6, 0x0
	.amdhsa_kernel _Z1kPii
		.amdhsa_group_segment_fixed_size 0
		.amdhsa_private_segment_fixed_size 0
		.amdhsa_kernarg_size 12
		.amdhsa_user_sgpr_count 6
		.amdhsa_user_sgpr_private_segment_buffer 1
		.amdhsa_user_sgpr_dispatch_ptr 0
		.amdhsa_user_sgpr_queue_ptr 0
		.amdhsa_user_sgpr_kernarg_segment_ptr 1
		.amdhsa_user_sgpr_dispatch_id 0
		.amdhsa_user_sgpr_flat_scratch_init 0
		.amdhsa_user_sgpr_private_segment_size 0
		.amdhsa_uses_dynamic_stack 0
		.amdhsa_system_sgpr_private_segment_wavefront_offset 0
		.amdhsa_system_sgpr_workgroup_id_x 1
		.amdhsa_system_sgpr_workgroup_id_y 0
		.amdhsa_system_sgpr_workgroup_id_z 0
		.amdhsa_system_sgpr_workgroup_info 0
		.amdhsa_system_vgpr_workitem_id 0
		.amdhsa_next_free_vgpr 14
		.amdhsa_next_free_sgpr 6
		.amdhsa_reserve_vcc 1
		.amdhsa_reserve_flat_scratch 0
		.amdhsa_float_round_mode_32 0
		.amdhsa_float_round_mode_16_64 0
		.amdhsa_float_denorm_mode_32 3
		.amdhsa_float_denorm_mode_16_64 3
		.amdhsa_dx10_clamp 1
		.amdhsa_ieee_mode 1
		.amdhsa_fp16_overflow 0
		.amdhsa_exception_fp_ieee_invalid_op 0
		.amdhsa_exception_fp_denorm_src 0
		.amdhsa_exception_fp_ieee_div_zero 0
		.amdhsa_exception_fp_ieee_overflow 0
		.amdhsa_exception_fp_ieee_underflow 0
		.amdhsa_exception_fp_ieee_inexact 0
		.amdhsa_exception_int_div_zero 0
	.end_amdhsa_kernel
	.text
.Lfunc_end0:
	.size	_Z1kPii, .Lfunc_end0-_Z1kPii
                                        ; -- End function
	.set _Z1kPii.num_vgpr, 14
	.set _Z1kPii.num_agpr, 0
	.set _Z1kPii.numbered_sgpr, 6
	.set _Z1kPii.num_named_barrier, 0
	.set _Z1kPii.private_seg_size, 0
	.set _Z1kPii.uses_vcc, 1
	.set _Z1kPii.uses_flat_scratch, 0
	.set _Z1kPii.has_dyn_sized_stack, 0
	.set _Z1kPii.has_recursion, 0
	.set _Z1kPii.has_indirect_call, 0
	.section	.AMDGPU.csdata,"",@progbits
; Kernel info:
; codeLenInByte = 1540
; TotalNumSgprs: 10
; NumVgprs: 14
; ScratchSize: 0
; MemoryBound: 0
; FloatMode: 240
; IeeeMode: 1
; LDSByteSize: 0 bytes/workgroup (compile time only)
; SGPRBlocks: 1
; VGPRBlocks: 3
; NumSGPRsForWavesPerEU: 10
; NumVGPRsForWavesPerEU: 14
; Occupancy: 10
; WaveLimiterHint : 0
; COMPUTE_PGM_RSRC2:SCRATCH_EN: 0
; COMPUTE_PGM_RSRC2:USER_SGPR: 6
; COMPUTE_PGM_RSRC2:TRAP_HANDLER: 0
; COMPUTE_PGM_RSRC2:TGID_X_EN: 1
; COMPUTE_PGM_RSRC2:TGID_Y_EN: 0
; COMPUTE_PGM_RSRC2:TGID_Z_EN: 0
; COMPUTE_PGM_RSRC2:TIDIG_COMP_CNT: 0
	.text
	.protected	_Z2k2Pii                ; -- Begin function _Z2k2Pii
	.globl	_Z2k2Pii
	.p2align	8
	.type	_Z2k2Pii,@function
_Z2k2Pii:                               ; @_Z2k2Pii
; %bb.0:
	s_load_dword s2, s[4:5], 0x8
	v_mbcnt_lo_u32_b32 v6, -1, 0
	v_mbcnt_hi_u32_b32 v6, -1, v6
	v_lshlrev_b32_e32 v6, 2, v6
	s_mov_b32 s14, 0
	s_waitcnt lgkmcnt(0)
	v_cvt_f32_u32_e32 v1, s2
	s_sub_i32 s0, 0, s2
	v_and_b32_e32 v6, 0x100, v6
	s_mov_b32 s15, 0
	v_rcp_iflag_f32_e32 v1, v1
                                        ; implicit-def: $vgpr2_vgpr3
	v_mul_f32_e32 v1, 0x4f7ffffe, v1
	v_cvt_u32_f32_e32 v4, v1
	v_mul_lo_u32 v1, s0, v4
	s_load_dwordx2 s[0:1], s[4:5], 0x0
	v_mul_hi_u32 v5, v4, v1
	v_mov_b32_e32 v1, 0
	s_waitcnt lgkmcnt(0)
	v_mov_b32_e32 v8, s1
	v_add_u32_e32 v4, v4, v5
	v_mul_hi_u32 v5, v0, v4
	v_and_b32_e32 v4, 63, v0
	v_mul_lo_u32 v7, v5, s2
	v_lshlrev_b32_e32 v5, 2, v4
	v_sub_u32_e32 v0, v0, v7
	v_subrev_u32_e32 v7, s2, v0
	v_cmp_le_u32_e32 vcc, s2, v0
	v_cndmask_b32_e32 v0, v0, v7, vcc
	v_subrev_u32_e32 v7, s2, v0
	v_cmp_le_u32_e32 vcc, s2, v0
	v_cndmask_b32_e32 v0, v0, v7, vcc
	v_lshlrev_b64 v[0:1], 2, v[0:1]
	v_add_co_u32_e32 v0, vcc, s0, v0
	v_addc_co_u32_e32 v1, vcc, v8, v1, vcc
.LBB1_1:                                ; =>This Inner Loop Header: Depth=1
	v_add_u32_e32 v19, s14, v6
	ds_bpermute_b32 v7, v19, v0
	ds_bpermute_b32 v8, v19, v1
	ds_bpermute_b32 v9, v19, v0 offset:4
	ds_bpermute_b32 v10, v19, v1 offset:4
	;; [unrolled: 1-line block ×4, first 2 shown]
	s_waitcnt lgkmcnt(4)
	v_cmp_eq_u64_e32 vcc, v[7:8], v[0:1]
	ds_bpermute_b32 v7, v19, v0 offset:24
	ds_bpermute_b32 v8, v19, v1 offset:24
	;; [unrolled: 1-line block ×4, first 2 shown]
	s_waitcnt lgkmcnt(6)
	v_cmp_eq_u64_e64 s[0:1], v[9:10], v[0:1]
	ds_bpermute_b32 v9, v19, v0 offset:28
	ds_bpermute_b32 v10, v19, v1 offset:28
	ds_bpermute_b32 v15, v19, v0 offset:16
	ds_bpermute_b32 v16, v19, v1 offset:16
	ds_bpermute_b32 v17, v19, v0 offset:20
	ds_bpermute_b32 v18, v19, v1 offset:20
	s_or_b32 s16, s15, 1
	s_waitcnt lgkmcnt(10)
	v_cmp_eq_u64_e64 s[2:3], v[11:12], v[0:1]
	s_waitcnt lgkmcnt(8)
	v_cmp_eq_u64_e64 s[10:11], v[7:8], v[0:1]
	v_mov_b32_e32 v7, vcc_lo
	v_mov_b32_e32 v8, vcc_hi
	v_cmp_eq_u32_e32 vcc, s14, v5
	s_or_b32 s17, s15, 2
	s_waitcnt lgkmcnt(6)
	v_cmp_eq_u64_e64 s[4:5], v[13:14], v[0:1]
	s_waitcnt lgkmcnt(4)
	v_cmp_eq_u64_e64 s[12:13], v[9:10], v[0:1]
	v_mov_b32_e32 v9, s1
	v_mov_b32_e32 v10, s0
	v_cndmask_b32_e32 v2, v2, v7, vcc
	v_cndmask_b32_e32 v3, v3, v8, vcc
	v_cmp_eq_u32_e32 vcc, s16, v4
	s_or_b32 s18, s15, 3
	s_waitcnt lgkmcnt(2)
	v_cmp_eq_u64_e64 s[6:7], v[15:16], v[0:1]
	v_mov_b32_e32 v11, s2
	v_mov_b32_e32 v12, s3
	v_cndmask_b32_e32 v3, v3, v9, vcc
	v_cndmask_b32_e32 v2, v2, v10, vcc
	v_cmp_eq_u32_e32 vcc, s17, v4
	s_or_b32 s19, s15, 4
	s_waitcnt lgkmcnt(0)
	v_cmp_eq_u64_e64 s[8:9], v[17:18], v[0:1]
	v_mov_b32_e32 v13, s5
	v_mov_b32_e32 v14, s4
	v_cndmask_b32_e32 v2, v2, v11, vcc
	v_cndmask_b32_e32 v3, v3, v12, vcc
	v_cmp_eq_u32_e32 vcc, s18, v4
	s_or_b32 s20, s15, 5
	v_mov_b32_e32 v15, s6
	v_mov_b32_e32 v16, s7
	v_cndmask_b32_e32 v3, v3, v13, vcc
	v_cndmask_b32_e32 v2, v2, v14, vcc
	v_cmp_eq_u32_e32 vcc, s19, v4
	s_or_b32 s21, s15, 6
	v_mov_b32_e32 v17, s9
	v_mov_b32_e32 v18, s8
	v_cndmask_b32_e32 v2, v2, v15, vcc
	v_cndmask_b32_e32 v3, v3, v16, vcc
	v_cmp_eq_u32_e32 vcc, s20, v4
	s_or_b32 s22, s15, 7
	v_mov_b32_e32 v19, s10
	v_mov_b32_e32 v7, s11
	v_cndmask_b32_e32 v3, v3, v17, vcc
	v_cndmask_b32_e32 v2, v2, v18, vcc
	v_cmp_eq_u32_e32 vcc, s21, v4
	s_add_i32 s15, s15, 8
	v_mov_b32_e32 v8, s13
	v_mov_b32_e32 v9, s12
	s_add_i32 s14, s14, 32
	v_cndmask_b32_e32 v2, v2, v19, vcc
	v_cndmask_b32_e32 v3, v3, v7, vcc
	v_cmp_eq_u32_e32 vcc, s22, v4
	s_cmp_eq_u32 s15, 64
	v_cndmask_b32_e32 v3, v3, v8, vcc
	v_cndmask_b32_e32 v2, v2, v9, vcc
	s_cbranch_scc0 .LBB1_1
; %bb.2:
	v_ffbl_b32_e32 v5, v3
	v_add_u32_e32 v5, 32, v5
	v_ffbl_b32_e32 v6, v2
	v_cmp_ne_u64_e32 vcc, 0, v[2:3]
	v_min_u32_e32 v5, v6, v5
	v_cmp_eq_u32_e64 s[0:1], v4, v5
	s_and_b64 s[0:1], vcc, s[0:1]
	s_and_saveexec_b64 s[2:3], s[0:1]
	s_cbranch_execz .LBB1_4
; %bb.3:
	v_bcnt_u32_b32 v2, v2, 0
	v_bcnt_u32_b32 v2, v3, v2
	global_atomic_add v[0:1], v2, off
.LBB1_4:
	s_endpgm
	.section	.rodata,"a",@progbits
	.p2align	6, 0x0
	.amdhsa_kernel _Z2k2Pii
		.amdhsa_group_segment_fixed_size 0
		.amdhsa_private_segment_fixed_size 0
		.amdhsa_kernarg_size 12
		.amdhsa_user_sgpr_count 6
		.amdhsa_user_sgpr_private_segment_buffer 1
		.amdhsa_user_sgpr_dispatch_ptr 0
		.amdhsa_user_sgpr_queue_ptr 0
		.amdhsa_user_sgpr_kernarg_segment_ptr 1
		.amdhsa_user_sgpr_dispatch_id 0
		.amdhsa_user_sgpr_flat_scratch_init 0
		.amdhsa_user_sgpr_private_segment_size 0
		.amdhsa_uses_dynamic_stack 0
		.amdhsa_system_sgpr_private_segment_wavefront_offset 0
		.amdhsa_system_sgpr_workgroup_id_x 1
		.amdhsa_system_sgpr_workgroup_id_y 0
		.amdhsa_system_sgpr_workgroup_id_z 0
		.amdhsa_system_sgpr_workgroup_info 0
		.amdhsa_system_vgpr_workitem_id 0
		.amdhsa_next_free_vgpr 20
		.amdhsa_next_free_sgpr 23
		.amdhsa_reserve_vcc 1
		.amdhsa_reserve_flat_scratch 0
		.amdhsa_float_round_mode_32 0
		.amdhsa_float_round_mode_16_64 0
		.amdhsa_float_denorm_mode_32 3
		.amdhsa_float_denorm_mode_16_64 3
		.amdhsa_dx10_clamp 1
		.amdhsa_ieee_mode 1
		.amdhsa_fp16_overflow 0
		.amdhsa_exception_fp_ieee_invalid_op 0
		.amdhsa_exception_fp_denorm_src 0
		.amdhsa_exception_fp_ieee_div_zero 0
		.amdhsa_exception_fp_ieee_overflow 0
		.amdhsa_exception_fp_ieee_underflow 0
		.amdhsa_exception_fp_ieee_inexact 0
		.amdhsa_exception_int_div_zero 0
	.end_amdhsa_kernel
	.text
.Lfunc_end1:
	.size	_Z2k2Pii, .Lfunc_end1-_Z2k2Pii
                                        ; -- End function
	.set _Z2k2Pii.num_vgpr, 20
	.set _Z2k2Pii.num_agpr, 0
	.set _Z2k2Pii.numbered_sgpr, 23
	.set _Z2k2Pii.num_named_barrier, 0
	.set _Z2k2Pii.private_seg_size, 0
	.set _Z2k2Pii.uses_vcc, 1
	.set _Z2k2Pii.uses_flat_scratch, 0
	.set _Z2k2Pii.has_dyn_sized_stack, 0
	.set _Z2k2Pii.has_recursion, 0
	.set _Z2k2Pii.has_indirect_call, 0
	.section	.AMDGPU.csdata,"",@progbits
; Kernel info:
; codeLenInByte = 676
; TotalNumSgprs: 27
; NumVgprs: 20
; ScratchSize: 0
; MemoryBound: 0
; FloatMode: 240
; IeeeMode: 1
; LDSByteSize: 0 bytes/workgroup (compile time only)
; SGPRBlocks: 3
; VGPRBlocks: 4
; NumSGPRsForWavesPerEU: 27
; NumVGPRsForWavesPerEU: 20
; Occupancy: 10
; WaveLimiterHint : 0
; COMPUTE_PGM_RSRC2:SCRATCH_EN: 0
; COMPUTE_PGM_RSRC2:USER_SGPR: 6
; COMPUTE_PGM_RSRC2:TRAP_HANDLER: 0
; COMPUTE_PGM_RSRC2:TGID_X_EN: 1
; COMPUTE_PGM_RSRC2:TGID_Y_EN: 0
; COMPUTE_PGM_RSRC2:TGID_Z_EN: 0
; COMPUTE_PGM_RSRC2:TIDIG_COMP_CNT: 0
	.section	.AMDGPU.gpr_maximums,"",@progbits
	.set amdgpu.max_num_vgpr, 0
	.set amdgpu.max_num_agpr, 0
	.set amdgpu.max_num_sgpr, 0
	.section	.AMDGPU.csdata,"",@progbits
	.type	__hip_cuid_22035841cfd1d8ba,@object ; @__hip_cuid_22035841cfd1d8ba
	.section	.bss,"aw",@nobits
	.globl	__hip_cuid_22035841cfd1d8ba
__hip_cuid_22035841cfd1d8ba:
	.byte	0                               ; 0x0
	.size	__hip_cuid_22035841cfd1d8ba, 1

	.ident	"AMD clang version 22.0.0git (https://github.com/RadeonOpenCompute/llvm-project roc-7.2.4 26084 f58b06dce1f9c15707c5f808fd002e18c2accf7e)"
	.section	".note.GNU-stack","",@progbits
	.addrsig
	.addrsig_sym __hip_cuid_22035841cfd1d8ba
	.amdgpu_metadata
---
amdhsa.kernels:
  - .args:
      - .address_space:  global
        .offset:         0
        .size:           8
        .value_kind:     global_buffer
      - .offset:         8
        .size:           4
        .value_kind:     by_value
    .group_segment_fixed_size: 0
    .kernarg_segment_align: 8
    .kernarg_segment_size: 12
    .language:       OpenCL C
    .language_version:
      - 2
      - 0
    .max_flat_workgroup_size: 1024
    .name:           _Z1kPii
    .private_segment_fixed_size: 0
    .sgpr_count:     10
    .sgpr_spill_count: 0
    .symbol:         _Z1kPii.kd
    .uniform_work_group_size: 1
    .uses_dynamic_stack: false
    .vgpr_count:     14
    .vgpr_spill_count: 0
    .wavefront_size: 64
  - .args:
      - .address_space:  global
        .offset:         0
        .size:           8
        .value_kind:     global_buffer
      - .offset:         8
        .size:           4
        .value_kind:     by_value
    .group_segment_fixed_size: 0
    .kernarg_segment_align: 8
    .kernarg_segment_size: 12
    .language:       OpenCL C
    .language_version:
      - 2
      - 0
    .max_flat_workgroup_size: 1024
    .name:           _Z2k2Pii
    .private_segment_fixed_size: 0
    .sgpr_count:     27
    .sgpr_spill_count: 0
    .symbol:         _Z2k2Pii.kd
    .uniform_work_group_size: 1
    .uses_dynamic_stack: false
    .vgpr_count:     20
    .vgpr_spill_count: 0
    .wavefront_size: 64
amdhsa.target:   amdgcn-amd-amdhsa--gfx906
amdhsa.version:
  - 1
  - 2
...

	.end_amdgpu_metadata
